;; amdgpu-corpus repo=ROCm/rocFFT kind=compiled arch=gfx906 opt=O3
	.text
	.amdgcn_target "amdgcn-amd-amdhsa--gfx906"
	.amdhsa_code_object_version 6
	.protected	fft_rtc_fwd_len512_factors_8_8_8_wgs_256_tpt_64_dp_ip_CI_sbcc_twdbase6_3step ; -- Begin function fft_rtc_fwd_len512_factors_8_8_8_wgs_256_tpt_64_dp_ip_CI_sbcc_twdbase6_3step
	.globl	fft_rtc_fwd_len512_factors_8_8_8_wgs_256_tpt_64_dp_ip_CI_sbcc_twdbase6_3step
	.p2align	8
	.type	fft_rtc_fwd_len512_factors_8_8_8_wgs_256_tpt_64_dp_ip_CI_sbcc_twdbase6_3step,@function
fft_rtc_fwd_len512_factors_8_8_8_wgs_256_tpt_64_dp_ip_CI_sbcc_twdbase6_3step: ; @fft_rtc_fwd_len512_factors_8_8_8_wgs_256_tpt_64_dp_ip_CI_sbcc_twdbase6_3step
; %bb.0:
	s_load_dwordx8 s[8:15], s[4:5], 0x8
	s_movk_i32 s0, 0xc0
	v_cmp_gt_u32_e32 vcc, s0, v0
	s_and_saveexec_b64 s[0:1], vcc
	s_cbranch_execz .LBB0_2
; %bb.1:
	v_lshlrev_b32_e32 v5, 4, v0
	s_waitcnt lgkmcnt(0)
	global_load_dwordx4 v[1:4], v5, s[8:9]
	v_add_u32_e32 v5, 0, v5
	v_add_u32_e32 v5, 0x8000, v5
	s_waitcnt vmcnt(0)
	ds_write2_b64 v5, v[1:2], v[3:4] offset1:1
.LBB0_2:
	s_or_b64 exec, exec, s[0:1]
	s_waitcnt lgkmcnt(0)
	s_load_dwordx2 s[20:21], s[12:13], 0x8
	s_mov_b32 s7, 0
	s_mov_b64 s[24:25], 0
	s_waitcnt lgkmcnt(0)
	s_add_u32 s0, s20, -1
	s_addc_u32 s1, s21, -1
	s_lshr_b64 s[0:1], s[0:1], 2
	s_add_u32 s22, s0, 1
	s_addc_u32 s23, s1, 0
	v_mov_b32_e32 v1, s22
	v_mov_b32_e32 v2, s23
	v_cmp_lt_u64_e32 vcc, s[6:7], v[1:2]
	s_cbranch_vccnz .LBB0_4
; %bb.3:
	v_cvt_f32_u32_e32 v1, s22
	s_sub_i32 s0, 0, s22
	s_mov_b32 s25, s7
	v_rcp_iflag_f32_e32 v1, v1
	v_mul_f32_e32 v1, 0x4f7ffffe, v1
	v_cvt_u32_f32_e32 v1, v1
	v_readfirstlane_b32 s1, v1
	s_mul_i32 s0, s0, s1
	s_mul_hi_u32 s0, s1, s0
	s_add_i32 s1, s1, s0
	s_mul_hi_u32 s0, s6, s1
	s_mul_i32 s2, s0, s22
	s_sub_i32 s2, s6, s2
	s_add_i32 s1, s0, 1
	s_sub_i32 s3, s2, s22
	s_cmp_ge_u32 s2, s22
	s_cselect_b32 s0, s1, s0
	s_cselect_b32 s2, s3, s2
	s_add_i32 s1, s0, 1
	s_cmp_ge_u32 s2, s22
	s_cselect_b32 s24, s1, s0
.LBB0_4:
	s_load_dwordx4 s[16:19], s[14:15], 0x0
	s_mul_i32 s0, s24, s23
	s_mul_hi_u32 s1, s24, s22
	s_add_i32 s1, s1, s0
	s_mul_i32 s0, s24, s22
	s_sub_u32 s0, s6, s0
	s_subb_u32 s1, 0, s1
	v_mov_b32_e32 v1, s0
	v_alignbit_b32 v1, s1, v1, 30
	s_waitcnt lgkmcnt(0)
	v_mul_lo_u32 v1, s18, v1
	s_load_dwordx2 s[2:3], s[4:5], 0x58
	s_load_dwordx2 s[8:9], s[4:5], 0x0
	s_lshl_b64 s[4:5], s[0:1], 2
	s_mul_hi_u32 s0, s18, s4
	v_add_u32_e32 v1, s0, v1
	s_mul_i32 s0, s19, s4
	v_add_u32_e32 v3, s0, v1
	v_cmp_lt_u64_e64 s[0:1], s[10:11], 3
	s_mul_i32 s26, s18, s4
	v_mov_b32_e32 v4, s26
	s_and_b64 vcc, exec, s[0:1]
	s_cbranch_vccnz .LBB0_13
; %bb.5:
	s_add_u32 s26, s14, 16
	s_addc_u32 s27, s15, 0
	s_add_u32 s12, s12, 16
	v_mov_b32_e32 v1, s10
	s_addc_u32 s13, s13, 0
	s_mov_b64 s[28:29], 2
	s_mov_b32 s30, 0
	v_mov_b32_e32 v2, s11
	s_branch .LBB0_7
.LBB0_6:                                ;   in Loop: Header=BB0_7 Depth=1
	s_mul_i32 s23, s34, s23
	s_mul_hi_u32 s31, s34, s22
	s_add_i32 s23, s31, s23
	s_mul_i32 s31, s35, s22
	s_add_i32 s23, s23, s31
	s_mul_i32 s31, s0, s35
	s_mul_hi_u32 s33, s0, s34
	s_load_dwordx2 s[36:37], s[26:27], 0x0
	s_add_i32 s31, s33, s31
	s_mul_i32 s33, s1, s34
	s_add_i32 s31, s31, s33
	s_mul_i32 s33, s0, s34
	s_sub_u32 s24, s24, s33
	s_subb_u32 s25, s25, s31
	s_waitcnt lgkmcnt(0)
	s_mul_i32 s25, s36, s25
	s_mul_hi_u32 s31, s36, s24
	s_add_i32 s25, s31, s25
	s_mul_i32 s31, s37, s24
	s_add_i32 s25, s25, s31
	s_mul_i32 s24, s36, s24
	s_add_u32 s28, s28, 1
	v_mov_b32_e32 v5, s25
	v_add_co_u32_e32 v4, vcc, s24, v4
	s_addc_u32 s29, s29, 0
	v_addc_co_u32_e32 v3, vcc, v5, v3, vcc
	s_add_u32 s26, s26, 8
	s_addc_u32 s27, s27, 0
	v_cmp_ge_u64_e32 vcc, s[28:29], v[1:2]
	s_add_u32 s12, s12, 8
	s_mul_i32 s22, s34, s22
	s_addc_u32 s13, s13, 0
	s_mov_b64 s[24:25], s[0:1]
	s_cbranch_vccnz .LBB0_11
.LBB0_7:                                ; =>This Inner Loop Header: Depth=1
	s_load_dwordx2 s[34:35], s[12:13], 0x0
	s_waitcnt lgkmcnt(0)
	s_or_b64 s[0:1], s[24:25], s[34:35]
	s_mov_b32 s31, s1
	s_cmp_lg_u64 s[30:31], 0
	s_cbranch_scc0 .LBB0_9
; %bb.8:                                ;   in Loop: Header=BB0_7 Depth=1
	v_cvt_f32_u32_e32 v5, s34
	v_cvt_f32_u32_e32 v6, s35
	s_sub_u32 s0, 0, s34
	s_subb_u32 s1, 0, s35
	v_mac_f32_e32 v5, 0x4f800000, v6
	v_rcp_f32_e32 v5, v5
	v_mul_f32_e32 v5, 0x5f7ffffc, v5
	v_mul_f32_e32 v6, 0x2f800000, v5
	v_trunc_f32_e32 v6, v6
	v_mac_f32_e32 v5, 0xcf800000, v6
	v_cvt_u32_f32_e32 v6, v6
	v_cvt_u32_f32_e32 v5, v5
	v_readfirstlane_b32 s31, v6
	v_readfirstlane_b32 s33, v5
	s_mul_i32 s36, s0, s31
	s_mul_hi_u32 s38, s0, s33
	s_mul_i32 s37, s1, s33
	s_add_i32 s36, s38, s36
	s_mul_i32 s39, s0, s33
	s_add_i32 s36, s36, s37
	s_mul_hi_u32 s37, s33, s36
	s_mul_i32 s38, s33, s36
	s_mul_hi_u32 s33, s33, s39
	s_add_u32 s33, s33, s38
	s_addc_u32 s37, 0, s37
	s_mul_hi_u32 s40, s31, s39
	s_mul_i32 s39, s31, s39
	s_add_u32 s33, s33, s39
	s_mul_hi_u32 s38, s31, s36
	s_addc_u32 s33, s37, s40
	s_addc_u32 s37, s38, 0
	s_mul_i32 s36, s31, s36
	s_add_u32 s33, s33, s36
	s_addc_u32 s36, 0, s37
	v_add_co_u32_e32 v5, vcc, s33, v5
	s_cmp_lg_u64 vcc, 0
	s_addc_u32 s31, s31, s36
	v_readfirstlane_b32 s36, v5
	s_mul_i32 s33, s0, s31
	s_mul_hi_u32 s37, s0, s36
	s_add_i32 s33, s37, s33
	s_mul_i32 s1, s1, s36
	s_add_i32 s33, s33, s1
	s_mul_i32 s0, s0, s36
	s_mul_hi_u32 s37, s31, s0
	s_mul_i32 s38, s31, s0
	s_mul_i32 s40, s36, s33
	s_mul_hi_u32 s0, s36, s0
	s_mul_hi_u32 s39, s36, s33
	s_add_u32 s0, s0, s40
	s_addc_u32 s36, 0, s39
	s_add_u32 s0, s0, s38
	s_mul_hi_u32 s1, s31, s33
	s_addc_u32 s0, s36, s37
	s_addc_u32 s1, s1, 0
	s_mul_i32 s33, s31, s33
	s_add_u32 s0, s0, s33
	s_addc_u32 s1, 0, s1
	v_add_co_u32_e32 v5, vcc, s0, v5
	s_cmp_lg_u64 vcc, 0
	s_addc_u32 s0, s31, s1
	v_readfirstlane_b32 s33, v5
	s_mul_i32 s31, s24, s0
	s_mul_hi_u32 s36, s24, s33
	s_mul_hi_u32 s1, s24, s0
	s_add_u32 s31, s36, s31
	s_addc_u32 s1, 0, s1
	s_mul_hi_u32 s37, s25, s33
	s_mul_i32 s33, s25, s33
	s_add_u32 s31, s31, s33
	s_mul_hi_u32 s36, s25, s0
	s_addc_u32 s1, s1, s37
	s_addc_u32 s31, s36, 0
	s_mul_i32 s0, s25, s0
	s_add_u32 s33, s1, s0
	s_addc_u32 s31, 0, s31
	s_mul_i32 s0, s34, s31
	s_mul_hi_u32 s1, s34, s33
	s_add_i32 s0, s1, s0
	s_mul_i32 s1, s35, s33
	s_add_i32 s36, s0, s1
	s_mul_i32 s1, s34, s33
	v_mov_b32_e32 v5, s1
	s_sub_i32 s0, s25, s36
	v_sub_co_u32_e32 v5, vcc, s24, v5
	s_cmp_lg_u64 vcc, 0
	s_subb_u32 s37, s0, s35
	v_subrev_co_u32_e64 v6, s[0:1], s34, v5
	s_cmp_lg_u64 s[0:1], 0
	s_subb_u32 s0, s37, 0
	s_cmp_ge_u32 s0, s35
	v_readfirstlane_b32 s37, v6
	s_cselect_b32 s1, -1, 0
	s_cmp_ge_u32 s37, s34
	s_cselect_b32 s37, -1, 0
	s_cmp_eq_u32 s0, s35
	s_cselect_b32 s0, s37, s1
	s_add_u32 s1, s33, 1
	s_addc_u32 s37, s31, 0
	s_add_u32 s38, s33, 2
	s_addc_u32 s39, s31, 0
	s_cmp_lg_u32 s0, 0
	s_cselect_b32 s0, s38, s1
	s_cselect_b32 s1, s39, s37
	s_cmp_lg_u64 vcc, 0
	s_subb_u32 s36, s25, s36
	s_cmp_ge_u32 s36, s35
	v_readfirstlane_b32 s38, v5
	s_cselect_b32 s37, -1, 0
	s_cmp_ge_u32 s38, s34
	s_cselect_b32 s38, -1, 0
	s_cmp_eq_u32 s36, s35
	s_cselect_b32 s36, s38, s37
	s_cmp_lg_u32 s36, 0
	s_cselect_b32 s1, s1, s31
	s_cselect_b32 s0, s0, s33
	s_cbranch_execnz .LBB0_6
	s_branch .LBB0_10
.LBB0_9:                                ;   in Loop: Header=BB0_7 Depth=1
                                        ; implicit-def: $sgpr0_sgpr1
.LBB0_10:                               ;   in Loop: Header=BB0_7 Depth=1
	v_cvt_f32_u32_e32 v5, s34
	s_sub_i32 s0, 0, s34
	v_rcp_iflag_f32_e32 v5, v5
	v_mul_f32_e32 v5, 0x4f7ffffe, v5
	v_cvt_u32_f32_e32 v5, v5
	v_readfirstlane_b32 s1, v5
	s_mul_i32 s0, s0, s1
	s_mul_hi_u32 s0, s1, s0
	s_add_i32 s1, s1, s0
	s_mul_hi_u32 s0, s24, s1
	s_mul_i32 s31, s0, s34
	s_sub_i32 s31, s24, s31
	s_add_i32 s1, s0, 1
	s_sub_i32 s33, s31, s34
	s_cmp_ge_u32 s31, s34
	s_cselect_b32 s0, s1, s0
	s_cselect_b32 s31, s33, s31
	s_add_i32 s1, s0, 1
	s_cmp_ge_u32 s31, s34
	s_cselect_b32 s0, s1, s0
	s_mov_b32 s1, s30
	s_branch .LBB0_6
.LBB0_11:
	v_mov_b32_e32 v1, s22
	v_mov_b32_e32 v2, s23
	v_cmp_lt_u64_e32 vcc, s[6:7], v[1:2]
	s_mov_b64 s[24:25], 0
	s_cbranch_vccnz .LBB0_13
; %bb.12:
	v_cvt_f32_u32_e32 v1, s22
	s_sub_i32 s0, 0, s22
	v_rcp_iflag_f32_e32 v1, v1
	v_mul_f32_e32 v1, 0x4f7ffffe, v1
	v_cvt_u32_f32_e32 v1, v1
	v_readfirstlane_b32 s1, v1
	s_mul_i32 s0, s0, s1
	s_mul_hi_u32 s0, s1, s0
	s_add_i32 s1, s1, s0
	s_mul_hi_u32 s0, s6, s1
	s_mul_i32 s7, s0, s22
	s_sub_i32 s6, s6, s7
	s_add_i32 s1, s0, 1
	s_sub_i32 s7, s6, s22
	s_cmp_ge_u32 s6, s22
	s_cselect_b32 s0, s1, s0
	s_cselect_b32 s6, s7, s6
	s_add_i32 s1, s0, 1
	s_cmp_ge_u32 s6, s22
	s_cselect_b32 s24, s1, s0
.LBB0_13:
	s_lshl_b64 s[0:1], s[10:11], 3
	s_add_u32 s0, s14, s0
	s_addc_u32 s1, s15, s1
	s_load_dwordx2 s[0:1], s[0:1], 0x0
	v_and_b32_e32 v45, 3, v0
	v_lshrrev_b32_e32 v40, 2, v0
	v_lshlrev_b32_e32 v43, 9, v45
	v_add_u32_e32 v44, 64, v40
	s_waitcnt lgkmcnt(0)
	s_mul_i32 s1, s1, s24
	s_mul_hi_u32 s6, s0, s24
	s_mul_i32 s0, s0, s24
	s_add_i32 s1, s6, s1
	v_mov_b32_e32 v2, s1
	v_add_co_u32_e32 v1, vcc, s0, v4
	v_addc_co_u32_e32 v2, vcc, v2, v3, vcc
	s_add_u32 s0, s4, 4
	v_mov_b32_e32 v3, s20
	s_addc_u32 s1, s5, 0
	v_mov_b32_e32 v4, s21
	v_cmp_le_u64_e32 vcc, s[0:1], v[3:4]
	v_or_b32_e32 v3, s4, v45
	v_mov_b32_e32 v4, s5
	v_cmp_gt_u64_e64 s[0:1], s[20:21], v[3:4]
	v_lshlrev_b64 v[26:27], 4, v[1:2]
	s_or_b64 s[0:1], vcc, s[0:1]
	v_lshlrev_b32_e32 v41, 13, v45
	v_lshlrev_b32_e32 v42, 4, v40
	s_and_saveexec_b64 s[6:7], s[0:1]
	s_cbranch_execz .LBB0_15
; %bb.14:
	v_mad_u64_u32 v[1:2], s[10:11], s18, v45, 0
	v_mad_u64_u32 v[3:4], s[10:11], s16, v40, 0
	v_add_u32_e32 v18, 0xc0, v40
	v_add_u32_e32 v37, 0x1c0, v40
	v_mad_u64_u32 v[5:6], s[10:11], s19, v45, v[2:3]
	v_mov_b32_e32 v2, v4
	v_mad_u64_u32 v[6:7], s[10:11], s17, v40, v[2:3]
	v_mov_b32_e32 v2, v5
	v_mov_b32_e32 v5, s3
	v_add_co_u32_e32 v7, vcc, s2, v26
	v_mov_b32_e32 v4, v6
	v_addc_co_u32_e32 v8, vcc, v5, v27, vcc
	v_mad_u64_u32 v[5:6], s[10:11], s16, v44, 0
	v_lshlrev_b64 v[1:2], 4, v[1:2]
	v_add_co_u32_e32 v39, vcc, v7, v1
	v_addc_co_u32_e32 v47, vcc, v8, v2, vcc
	v_lshlrev_b64 v[1:2], 4, v[3:4]
	v_mov_b32_e32 v3, v6
	v_mad_u64_u32 v[3:4], s[10:11], s17, v44, v[3:4]
	v_add_co_u32_e32 v9, vcc, v39, v1
	v_mov_b32_e32 v6, v3
	v_add_u32_e32 v3, 0x80, v40
	v_mad_u64_u32 v[11:12], s[10:11], s16, v3, 0
	v_addc_co_u32_e32 v10, vcc, v47, v2, vcc
	v_lshlrev_b64 v[1:2], 4, v[5:6]
	v_add_co_u32_e32 v13, vcc, v39, v1
	v_mov_b32_e32 v1, v12
	v_mad_u64_u32 v[15:16], s[10:11], s17, v3, v[1:2]
	v_mad_u64_u32 v[16:17], s[10:11], s16, v18, 0
	v_mov_b32_e32 v12, v15
	v_addc_co_u32_e32 v14, vcc, v47, v2, vcc
	global_load_dwordx4 v[1:4], v[9:10], off
	global_load_dwordx4 v[5:8], v[13:14], off
	v_lshlrev_b64 v[9:10], 4, v[11:12]
	v_mov_b32_e32 v11, v17
	v_mad_u64_u32 v[11:12], s[10:11], s17, v18, v[11:12]
	v_add_co_u32_e32 v18, vcc, v39, v9
	v_mov_b32_e32 v17, v11
	v_addc_co_u32_e32 v19, vcc, v47, v10, vcc
	v_lshlrev_b64 v[9:10], 4, v[16:17]
	v_add_u32_e32 v11, 0x140, v40
	v_add_co_u32_e32 v20, vcc, v39, v9
	v_addc_co_u32_e32 v21, vcc, v47, v10, vcc
	v_or_b32_e32 v10, 0x100, v40
	v_mad_u64_u32 v[22:23], s[10:11], s16, v10, 0
	v_mad_u64_u32 v[24:25], s[10:11], s16, v11, 0
	v_mov_b32_e32 v9, v23
	v_mad_u64_u32 v[28:29], s[10:11], s17, v10, v[9:10]
	v_mov_b32_e32 v9, v25
	;; [unrolled: 2-line block ×3, first 2 shown]
	global_load_dwordx4 v[9:12], v[18:19], off
	global_load_dwordx4 v[13:16], v[20:21], off
	v_lshlrev_b64 v[17:18], 4, v[22:23]
	v_add_u32_e32 v19, 0x180, v40
	v_mad_u64_u32 v[30:31], s[10:11], s16, v19, 0
	v_mov_b32_e32 v25, v29
	v_add_co_u32_e32 v28, vcc, v39, v17
	v_addc_co_u32_e32 v29, vcc, v47, v18, vcc
	v_lshlrev_b64 v[17:18], 4, v[24:25]
	v_add_co_u32_e32 v32, vcc, v39, v17
	v_mov_b32_e32 v17, v31
	v_mad_u64_u32 v[34:35], s[10:11], s17, v19, v[17:18]
	v_mad_u64_u32 v[35:36], s[10:11], s16, v37, 0
	v_mov_b32_e32 v31, v34
	v_addc_co_u32_e32 v33, vcc, v47, v18, vcc
	v_mov_b32_e32 v25, v36
	global_load_dwordx4 v[17:20], v[28:29], off
	global_load_dwordx4 v[21:24], v[32:33], off
	v_lshlrev_b64 v[28:29], 4, v[30:31]
	v_mad_u64_u32 v[30:31], s[10:11], s17, v37, v[25:26]
	v_add_co_u32_e32 v37, vcc, v39, v28
	v_mov_b32_e32 v36, v30
	v_addc_co_u32_e32 v38, vcc, v47, v29, vcc
	v_lshlrev_b64 v[28:29], 4, v[35:36]
	v_or_b32_e32 v25, v43, v40
	v_add_co_u32_e32 v46, vcc, v39, v28
	v_addc_co_u32_e32 v47, vcc, v47, v29, vcc
	global_load_dwordx4 v[28:31], v[37:38], off
	global_load_dwordx4 v[32:35], v[46:47], off
	v_lshl_add_u32 v25, v25, 4, 0
	s_waitcnt vmcnt(7)
	ds_write_b128 v25, v[1:4]
	v_add_u32_e32 v1, v43, v40
	v_lshl_add_u32 v1, v1, 4, 0
	s_waitcnt vmcnt(6)
	ds_write_b128 v1, v[5:8] offset:1024
	s_waitcnt vmcnt(5)
	ds_write_b128 v1, v[9:12] offset:2048
	;; [unrolled: 2-line block ×4, first 2 shown]
	v_add3_u32 v1, 0, v41, v42
	s_waitcnt vmcnt(2)
	ds_write_b128 v1, v[21:24] offset:5120
	s_waitcnt vmcnt(1)
	ds_write_b128 v1, v[28:31] offset:6144
	;; [unrolled: 2-line block ×3, first 2 shown]
.LBB0_15:
	s_or_b64 exec, exec, s[6:7]
	v_lshrrev_b32_e32 v36, 6, v0
	v_and_b32_e32 v37, 63, v0
	v_lshlrev_b32_e32 v5, 13, v36
	v_add_u32_e32 v9, 0, v5
	v_lshlrev_b32_e32 v6, 4, v37
	v_add_u32_e32 v8, v9, v6
	v_add3_u32 v46, 0, v6, v5
	s_waitcnt lgkmcnt(0)
	s_barrier
	ds_read_b128 v[1:4], v8
	ds_read_b128 v[10:13], v46 offset:1024
	ds_read_b128 v[14:17], v46 offset:2048
	;; [unrolled: 1-line block ×7, first 2 shown]
	s_mov_b32 s6, 0x667f3bcd
	s_mov_b32 s7, 0xbfe6a09e
	s_waitcnt lgkmcnt(2)
	v_add_f64 v[28:29], v[10:11], -v[28:29]
	v_add_f64 v[5:6], v[1:2], -v[22:23]
	;; [unrolled: 1-line block ×3, first 2 shown]
	s_waitcnt lgkmcnt(1)
	v_add_f64 v[24:25], v[14:15], -v[32:33]
	v_add_f64 v[32:33], v[16:17], -v[34:35]
	;; [unrolled: 1-line block ×3, first 2 shown]
	s_waitcnt lgkmcnt(0)
	v_add_f64 v[34:35], v[18:19], -v[47:48]
	v_add_f64 v[38:39], v[20:21], -v[49:50]
	v_fma_f64 v[10:11], v[10:11], 2.0, -v[28:29]
	v_fma_f64 v[1:2], v[1:2], 2.0, -v[5:6]
	;; [unrolled: 1-line block ×8, first 2 shown]
	v_add_f64 v[51:52], v[5:6], -v[32:33]
	v_add_f64 v[38:39], v[28:29], -v[38:39]
	v_add_f64 v[24:25], v[22:23], v[24:25]
	v_add_f64 v[47:48], v[1:2], -v[14:15]
	v_add_f64 v[49:50], v[3:4], -v[16:17]
	v_add_f64 v[55:56], v[30:31], v[34:35]
	v_add_f64 v[32:33], v[10:11], -v[18:19]
	v_add_f64 v[53:54], v[12:13], -v[20:21]
	v_fma_f64 v[5:6], v[5:6], 2.0, -v[51:52]
	v_fma_f64 v[18:19], v[28:29], 2.0, -v[38:39]
	;; [unrolled: 1-line block ×8, first 2 shown]
	v_add_f64 v[30:31], v[49:50], v[32:33]
	s_mov_b32 s11, 0x3fe6a09e
	s_mov_b32 s10, s6
	v_lshlrev_b32_e32 v10, 3, v0
	s_movk_i32 s5, 0x70
	v_fma_f64 v[28:29], v[20:21], s[6:7], v[22:23]
	v_add_f64 v[1:2], v[14:15], -v[1:2]
	v_add_f64 v[3:4], v[16:17], -v[3:4]
	v_fma_f64 v[34:35], v[49:50], 2.0, -v[30:31]
	v_fma_f64 v[49:50], v[55:56], s[10:11], v[24:25]
	s_barrier
	v_fma_f64 v[11:12], v[14:15], 2.0, -v[1:2]
	v_fma_f64 v[13:14], v[16:17], 2.0, -v[3:4]
	v_fma_f64 v[15:16], v[18:19], s[6:7], v[5:6]
	v_fma_f64 v[17:18], v[18:19], s[10:11], v[28:29]
	v_add_f64 v[28:29], v[47:48], -v[53:54]
	v_fma_f64 v[49:50], v[38:39], s[10:11], v[49:50]
	v_fma_f64 v[15:16], v[20:21], s[6:7], v[15:16]
	v_fma_f64 v[21:22], v[22:23], 2.0, -v[17:18]
	v_fma_f64 v[32:33], v[47:48], 2.0, -v[28:29]
	;; [unrolled: 1-line block ×3, first 2 shown]
	v_and_b32_e32 v25, 7, v0
	v_mul_u32_u24_e32 v0, 7, v25
	v_lshlrev_b32_e32 v0, 4, v0
	v_fma_f64 v[19:20], v[5:6], 2.0, -v[15:16]
	v_fma_f64 v[5:6], v[38:39], s[10:11], v[51:52]
	v_fma_f64 v[47:48], v[55:56], s[6:7], v[5:6]
	v_mad_u32_u24 v5, v37, s5, v46
	s_movk_i32 s5, 0x1c0
	v_and_or_b32 v10, v10, s5, v25
	v_lshl_add_u32 v9, v10, 4, v9
	v_fma_f64 v[51:52], v[51:52], 2.0, -v[47:48]
	ds_write_b128 v5, v[11:14]
	ds_write_b128 v5, v[19:22] offset:16
	ds_write_b128 v5, v[32:35] offset:32
	;; [unrolled: 1-line block ×7, first 2 shown]
	s_waitcnt lgkmcnt(0)
	s_barrier
	ds_read_b128 v[1:4], v8
	ds_read_b128 v[11:14], v46 offset:1024
	ds_read_b128 v[15:18], v46 offset:2048
	;; [unrolled: 1-line block ×7, first 2 shown]
	global_load_dwordx4 v[55:58], v0, s[8:9] offset:48
	global_load_dwordx4 v[59:62], v0, s[8:9] offset:32
	;; [unrolled: 1-line block ×3, first 2 shown]
	global_load_dwordx4 v[67:70], v0, s[8:9]
	s_waitcnt vmcnt(0) lgkmcnt(6)
	v_mul_f64 v[5:6], v[13:14], v[69:70]
	v_fma_f64 v[5:6], v[11:12], v[67:68], -v[5:6]
	v_mul_f64 v[11:12], v[11:12], v[69:70]
	v_fma_f64 v[23:24], v[13:14], v[67:68], v[11:12]
	s_waitcnt lgkmcnt(5)
	v_mul_f64 v[11:12], v[17:18], v[65:66]
	v_fma_f64 v[38:39], v[15:16], v[63:64], -v[11:12]
	v_mul_f64 v[11:12], v[15:16], v[65:66]
	v_fma_f64 v[63:64], v[17:18], v[63:64], v[11:12]
	s_waitcnt lgkmcnt(4)
	;; [unrolled: 5-line block ×3, first 2 shown]
	v_mul_f64 v[11:12], v[30:31], v[57:58]
	v_fma_f64 v[61:62], v[28:29], v[55:56], -v[11:12]
	v_mul_f64 v[11:12], v[28:29], v[57:58]
	v_fma_f64 v[28:29], v[30:31], v[55:56], v[11:12]
	global_load_dwordx4 v[11:14], v0, s[8:9] offset:96
	global_load_dwordx4 v[15:18], v0, s[8:9] offset:80
	;; [unrolled: 1-line block ×3, first 2 shown]
	s_waitcnt vmcnt(0) lgkmcnt(0)
	s_barrier
	v_add_f64 v[28:29], v[3:4], -v[28:29]
	v_mul_f64 v[30:31], v[34:35], v[21:22]
	v_mul_f64 v[21:22], v[32:33], v[21:22]
	v_fma_f64 v[30:31], v[32:33], v[19:20], -v[30:31]
	v_fma_f64 v[19:20], v[34:35], v[19:20], v[21:22]
	v_mul_f64 v[21:22], v[49:50], v[17:18]
	v_mul_f64 v[17:18], v[47:48], v[17:18]
	v_add_f64 v[30:31], v[5:6], -v[30:31]
	v_add_f64 v[19:20], v[23:24], -v[19:20]
	v_fma_f64 v[21:22], v[47:48], v[15:16], -v[21:22]
	v_fma_f64 v[15:16], v[49:50], v[15:16], v[17:18]
	v_mul_f64 v[17:18], v[53:54], v[13:14]
	v_mul_f64 v[13:14], v[51:52], v[13:14]
	v_add_f64 v[21:22], v[38:39], -v[21:22]
	v_add_f64 v[15:16], v[63:64], -v[15:16]
	v_fma_f64 v[17:18], v[51:52], v[11:12], -v[17:18]
	v_fma_f64 v[11:12], v[53:54], v[11:12], v[13:14]
	v_add_f64 v[13:14], v[1:2], -v[61:62]
	v_fma_f64 v[32:33], v[38:39], 2.0, -v[21:22]
	v_fma_f64 v[34:35], v[63:64], 2.0, -v[15:16]
	v_add_f64 v[17:18], v[65:66], -v[17:18]
	v_add_f64 v[11:12], v[59:60], -v[11:12]
	v_fma_f64 v[0:1], v[1:2], 2.0, -v[13:14]
	v_fma_f64 v[2:3], v[3:4], 2.0, -v[28:29]
	;; [unrolled: 1-line block ×4, first 2 shown]
	v_add_f64 v[47:48], v[13:14], -v[15:16]
	v_add_f64 v[49:50], v[28:29], v[21:22]
	v_fma_f64 v[23:24], v[65:66], 2.0, -v[17:18]
	v_fma_f64 v[38:39], v[59:60], 2.0, -v[11:12]
	v_add_f64 v[32:33], v[0:1], -v[32:33]
	v_add_f64 v[34:35], v[2:3], -v[34:35]
	v_add_f64 v[55:56], v[30:31], -v[11:12]
	v_add_f64 v[57:58], v[19:20], v[17:18]
	v_fma_f64 v[51:52], v[13:14], 2.0, -v[47:48]
	v_fma_f64 v[53:54], v[28:29], 2.0, -v[49:50]
	v_add_f64 v[23:24], v[4:5], -v[23:24]
	v_add_f64 v[38:39], v[6:7], -v[38:39]
	v_fma_f64 v[0:1], v[0:1], 2.0, -v[32:33]
	v_fma_f64 v[2:3], v[2:3], 2.0, -v[34:35]
	;; [unrolled: 1-line block ×6, first 2 shown]
	v_add_f64 v[11:12], v[0:1], -v[4:5]
	v_add_f64 v[13:14], v[2:3], -v[6:7]
	;; [unrolled: 1-line block ×3, first 2 shown]
	v_add_f64 v[6:7], v[34:35], v[23:24]
	v_mul_u32_u24_e32 v24, 7, v37
	v_lshlrev_b32_e32 v63, 4, v24
	v_fma_f64 v[15:16], v[0:1], 2.0, -v[11:12]
	v_fma_f64 v[17:18], v[2:3], 2.0, -v[13:14]
	v_fma_f64 v[0:1], v[21:22], s[6:7], v[51:52]
	v_fma_f64 v[2:3], v[19:20], s[6:7], v[53:54]
	v_fma_f64 v[32:33], v[32:33], 2.0, -v[4:5]
	v_fma_f64 v[34:35], v[34:35], 2.0, -v[6:7]
	v_fma_f64 v[19:20], v[19:20], s[6:7], v[0:1]
	v_fma_f64 v[21:22], v[21:22], s[10:11], v[2:3]
	;; [unrolled: 1-line block ×4, first 2 shown]
	v_fma_f64 v[28:29], v[51:52], 2.0, -v[19:20]
	v_fma_f64 v[30:31], v[53:54], 2.0, -v[21:22]
	v_fma_f64 v[0:1], v[57:58], s[6:7], v[0:1]
	v_fma_f64 v[2:3], v[55:56], s[10:11], v[2:3]
	v_fma_f64 v[47:48], v[47:48], 2.0, -v[0:1]
	v_fma_f64 v[49:50], v[49:50], 2.0, -v[2:3]
	ds_write_b128 v9, v[15:18]
	ds_write_b128 v9, v[28:31] offset:128
	ds_write_b128 v9, v[32:35] offset:256
	ds_write_b128 v9, v[47:50] offset:384
	ds_write_b128 v9, v[11:14] offset:512
	ds_write_b128 v9, v[19:22] offset:640
	ds_write_b128 v9, v[4:7] offset:768
	ds_write_b128 v9, v[0:3] offset:896
	s_waitcnt lgkmcnt(0)
	s_barrier
	ds_read_b128 v[0:3], v8
	ds_read_b128 v[4:7], v46 offset:1024
	ds_read_b128 v[8:11], v46 offset:2048
	ds_read_b128 v[12:15], v46 offset:3072
	ds_read_b128 v[16:19], v46 offset:4096
	ds_read_b128 v[20:23], v46 offset:5120
	ds_read_b128 v[28:31], v46 offset:6144
	ds_read_b128 v[32:35], v46 offset:7168
	global_load_dwordx4 v[47:50], v63, s[8:9] offset:944
	global_load_dwordx4 v[51:54], v63, s[8:9] offset:928
	;; [unrolled: 1-line block ×4, first 2 shown]
	s_waitcnt vmcnt(0) lgkmcnt(6)
	v_mul_f64 v[24:25], v[6:7], v[61:62]
	v_fma_f64 v[24:25], v[4:5], v[59:60], -v[24:25]
	v_mul_f64 v[4:5], v[4:5], v[61:62]
	v_fma_f64 v[38:39], v[6:7], v[59:60], v[4:5]
	s_waitcnt lgkmcnt(5)
	v_mul_f64 v[4:5], v[10:11], v[57:58]
	v_fma_f64 v[59:60], v[8:9], v[55:56], -v[4:5]
	v_mul_f64 v[4:5], v[8:9], v[57:58]
	v_fma_f64 v[55:56], v[10:11], v[55:56], v[4:5]
	s_waitcnt lgkmcnt(4)
	;; [unrolled: 5-line block ×3, first 2 shown]
	v_mul_f64 v[4:5], v[18:19], v[49:50]
	v_fma_f64 v[53:54], v[16:17], v[47:48], -v[4:5]
	v_mul_f64 v[4:5], v[16:17], v[49:50]
	v_fma_f64 v[16:17], v[18:19], v[47:48], v[4:5]
	global_load_dwordx4 v[4:7], v63, s[8:9] offset:992
	global_load_dwordx4 v[8:11], v63, s[8:9] offset:976
	;; [unrolled: 1-line block ×3, first 2 shown]
	v_add_f64 v[16:17], v[2:3], -v[16:17]
	v_fma_f64 v[2:3], v[2:3], 2.0, -v[16:17]
	s_waitcnt vmcnt(0) lgkmcnt(2)
	v_mul_f64 v[18:19], v[22:23], v[14:15]
	v_mul_f64 v[14:15], v[20:21], v[14:15]
	v_fma_f64 v[18:19], v[20:21], v[12:13], -v[18:19]
	v_fma_f64 v[12:13], v[22:23], v[12:13], v[14:15]
	s_waitcnt lgkmcnt(1)
	v_mul_f64 v[14:15], v[30:31], v[10:11]
	v_mul_f64 v[10:11], v[28:29], v[10:11]
	v_add_f64 v[18:19], v[24:25], -v[18:19]
	v_add_f64 v[12:13], v[38:39], -v[12:13]
	v_fma_f64 v[14:15], v[28:29], v[8:9], -v[14:15]
	v_fma_f64 v[8:9], v[30:31], v[8:9], v[10:11]
	s_waitcnt lgkmcnt(0)
	v_mul_f64 v[10:11], v[34:35], v[6:7]
	v_mul_f64 v[6:7], v[32:33], v[6:7]
	v_fma_f64 v[24:25], v[24:25], 2.0, -v[18:19]
	v_fma_f64 v[28:29], v[38:39], 2.0, -v[12:13]
	v_add_f64 v[14:15], v[59:60], -v[14:15]
	v_add_f64 v[8:9], v[55:56], -v[8:9]
	v_fma_f64 v[10:11], v[32:33], v[4:5], -v[10:11]
	v_fma_f64 v[4:5], v[34:35], v[4:5], v[6:7]
	v_add_f64 v[6:7], v[0:1], -v[53:54]
	v_fma_f64 v[20:21], v[59:60], 2.0, -v[14:15]
	v_fma_f64 v[22:23], v[55:56], 2.0, -v[8:9]
	v_add_f64 v[10:11], v[57:58], -v[10:11]
	v_add_f64 v[4:5], v[51:52], -v[4:5]
	v_fma_f64 v[0:1], v[0:1], 2.0, -v[6:7]
	v_add_f64 v[53:54], v[16:17], v[14:15]
	v_add_f64 v[49:50], v[2:3], -v[22:23]
	v_fma_f64 v[30:31], v[57:58], 2.0, -v[10:11]
	v_fma_f64 v[32:33], v[51:52], 2.0, -v[4:5]
	v_add_f64 v[47:48], v[0:1], -v[20:21]
	v_fma_f64 v[14:15], v[16:17], 2.0, -v[53:54]
	v_add_f64 v[51:52], v[6:7], -v[8:9]
	v_add_f64 v[4:5], v[18:19], -v[4:5]
	v_fma_f64 v[2:3], v[2:3], 2.0, -v[49:50]
	v_add_f64 v[16:17], v[24:25], -v[30:31]
	v_add_f64 v[30:31], v[28:29], -v[32:33]
	v_fma_f64 v[0:1], v[0:1], 2.0, -v[47:48]
	v_fma_f64 v[6:7], v[6:7], 2.0, -v[51:52]
	;; [unrolled: 1-line block ×4, first 2 shown]
	v_add_f64 v[28:29], v[12:13], v[10:11]
	v_fma_f64 v[10:11], v[18:19], 2.0, -v[4:5]
	v_add_f64 v[32:33], v[47:48], -v[30:31]
	v_add_f64 v[34:35], v[49:50], v[16:17]
	v_add_f64 v[20:21], v[0:1], -v[8:9]
	v_add_f64 v[22:23], v[2:3], -v[22:23]
	v_fma_f64 v[12:13], v[12:13], 2.0, -v[28:29]
	v_fma_f64 v[55:56], v[0:1], 2.0, -v[20:21]
	;; [unrolled: 1-line block ×3, first 2 shown]
	v_fma_f64 v[0:1], v[10:11], s[6:7], v[6:7]
	v_fma_f64 v[2:3], v[12:13], s[6:7], v[14:15]
	;; [unrolled: 1-line block ×6, first 2 shown]
	v_fma_f64 v[12:13], v[47:48], 2.0, -v[32:33]
	v_fma_f64 v[8:9], v[6:7], 2.0, -v[24:25]
	v_fma_f64 v[10:11], v[14:15], 2.0, -v[38:39]
	v_fma_f64 v[30:31], v[28:29], s[6:7], v[0:1]
	v_fma_f64 v[28:29], v[4:5], s[10:11], v[2:3]
	v_add_u32_e32 v0, s4, v36
	v_fma_f64 v[14:15], v[49:50], 2.0, -v[34:35]
	s_add_i32 s4, 0, 0x8000
	v_fma_f64 v[16:17], v[51:52], 2.0, -v[30:31]
	v_fma_f64 v[18:19], v[53:54], 2.0, -v[28:29]
	v_mul_lo_u32 v54, v0, v37
	v_lshlrev_b32_e32 v0, 6, v0
	v_add_u32_e32 v61, v54, v0
	v_add_u32_e32 v62, v61, v0
	;; [unrolled: 1-line block ×7, first 2 shown]
	v_and_b32_e32 v1, 63, v54
	v_and_b32_e32 v0, 63, v47
	v_lshl_add_u32 v1, v1, 4, 0
	v_lshl_add_u32 v4, v0, 4, 0
	ds_read_b64 v[52:53], v1 offset:32768
	ds_read_b128 v[0:3], v4 offset:32768
	ds_read_b64 v[36:37], v4 offset:32776
	v_lshrrev_b32_e32 v4, 2, v54
	v_and_b32_e32 v4, 0x3f0, v4
	v_add_u32_e32 v4, s4, v4
	ds_read_b128 v[4:7], v4 offset:1024
	s_waitcnt lgkmcnt(0)
	v_mul_f64 v[59:60], v[2:3], v[6:7]
	v_mul_f64 v[6:7], v[52:53], v[6:7]
	v_fma_f64 v[59:60], v[52:53], v[4:5], -v[59:60]
	v_fma_f64 v[6:7], v[2:3], v[4:5], v[6:7]
	v_lshrrev_b32_e32 v2, 8, v54
	v_and_b32_e32 v2, 0x3f0, v2
	v_add_u32_e32 v2, s4, v2
	ds_read_b128 v[2:5], v2 offset:2048
	s_waitcnt lgkmcnt(0)
	v_mul_f64 v[52:53], v[6:7], v[4:5]
	v_mul_f64 v[4:5], v[59:60], v[4:5]
	v_fma_f64 v[52:53], v[2:3], v[59:60], -v[52:53]
	v_fma_f64 v[4:5], v[2:3], v[6:7], v[4:5]
	v_and_b32_e32 v6, 63, v61
	v_lshl_add_u32 v6, v6, 4, 0
	v_add_u32_e32 v6, 0x8000, v6
	v_mul_f64 v[2:3], v[57:58], v[4:5]
	v_mul_f64 v[4:5], v[55:56], v[4:5]
	v_fma_f64 v[2:3], v[55:56], v[52:53], -v[2:3]
	v_fma_f64 v[4:5], v[57:58], v[52:53], v[4:5]
	ds_read2_b64 v[52:55], v6 offset1:1
	v_lshrrev_b32_e32 v6, 2, v61
	v_and_b32_e32 v6, 0x3f0, v6
	v_add_u32_e32 v6, s4, v6
	ds_read_b128 v[56:59], v6 offset:1024
	s_waitcnt lgkmcnt(0)
	v_mul_f64 v[6:7], v[54:55], v[58:59]
	v_fma_f64 v[6:7], v[52:53], v[56:57], -v[6:7]
	v_mul_f64 v[52:53], v[52:53], v[58:59]
	v_fma_f64 v[56:57], v[54:55], v[56:57], v[52:53]
	v_lshrrev_b32_e32 v52, 8, v61
	v_and_b32_e32 v52, 0x3f0, v52
	v_add_u32_e32 v52, s4, v52
	ds_read_b128 v[52:55], v52 offset:2048
	s_waitcnt lgkmcnt(0)
	v_mul_f64 v[58:59], v[56:57], v[54:55]
	v_fma_f64 v[58:59], v[52:53], v[6:7], -v[58:59]
	v_mul_f64 v[6:7], v[6:7], v[54:55]
	v_fma_f64 v[52:53], v[52:53], v[56:57], v[6:7]
	v_mul_f64 v[6:7], v[10:11], v[52:53]
	v_fma_f64 v[6:7], v[8:9], v[58:59], -v[6:7]
	v_mul_f64 v[8:9], v[8:9], v[52:53]
	v_fma_f64 v[8:9], v[10:11], v[58:59], v[8:9]
	v_and_b32_e32 v10, 63, v62
	v_lshl_add_u32 v10, v10, 4, 0
	v_add_u32_e32 v10, 0x8000, v10
	ds_read2_b64 v[52:55], v10 offset1:1
	v_lshrrev_b32_e32 v10, 2, v62
	v_and_b32_e32 v10, 0x3f0, v10
	v_add_u32_e32 v10, s4, v10
	ds_read_b128 v[56:59], v10 offset:1024
	s_waitcnt lgkmcnt(0)
	v_mul_f64 v[10:11], v[54:55], v[58:59]
	v_fma_f64 v[10:11], v[52:53], v[56:57], -v[10:11]
	v_mul_f64 v[52:53], v[52:53], v[58:59]
	v_fma_f64 v[56:57], v[54:55], v[56:57], v[52:53]
	v_lshrrev_b32_e32 v52, 8, v62
	v_and_b32_e32 v52, 0x3f0, v52
	v_add_u32_e32 v52, s4, v52
	ds_read_b128 v[52:55], v52 offset:2048
	s_waitcnt lgkmcnt(0)
	v_mul_f64 v[58:59], v[56:57], v[54:55]
	v_fma_f64 v[58:59], v[52:53], v[10:11], -v[58:59]
	v_mul_f64 v[10:11], v[10:11], v[54:55]
	v_fma_f64 v[52:53], v[52:53], v[56:57], v[10:11]
	v_mul_f64 v[10:11], v[14:15], v[52:53]
	v_fma_f64 v[10:11], v[12:13], v[58:59], -v[10:11]
	v_mul_f64 v[12:13], v[12:13], v[52:53]
	v_fma_f64 v[12:13], v[14:15], v[58:59], v[12:13]
	v_and_b32_e32 v14, 63, v51
	v_lshl_add_u32 v14, v14, 4, 0
	v_add_u32_e32 v14, 0x8000, v14
	ds_read2_b64 v[52:55], v14 offset1:1
	v_lshrrev_b32_e32 v14, 2, v51
	v_and_b32_e32 v14, 0x3f0, v14
	v_add_u32_e32 v14, s4, v14
	ds_read_b128 v[56:59], v14 offset:1024
	v_lshrrev_b32_e32 v51, 8, v51
	v_and_b32_e32 v51, 0x3f0, v51
	v_add_u32_e32 v51, s4, v51
	s_waitcnt lgkmcnt(0)
	v_mul_f64 v[14:15], v[54:55], v[58:59]
	v_fma_f64 v[14:15], v[52:53], v[56:57], -v[14:15]
	v_mul_f64 v[52:53], v[52:53], v[58:59]
	v_fma_f64 v[55:56], v[54:55], v[56:57], v[52:53]
	ds_read_b128 v[51:54], v51 offset:2048
	s_waitcnt lgkmcnt(0)
	v_mul_f64 v[57:58], v[55:56], v[53:54]
	v_fma_f64 v[57:58], v[51:52], v[14:15], -v[57:58]
	v_mul_f64 v[14:15], v[14:15], v[53:54]
	v_fma_f64 v[51:52], v[51:52], v[55:56], v[14:15]
	v_mul_f64 v[14:15], v[18:19], v[51:52]
	v_fma_f64 v[14:15], v[16:17], v[57:58], -v[14:15]
	v_mul_f64 v[16:17], v[16:17], v[51:52]
	v_fma_f64 v[16:17], v[18:19], v[57:58], v[16:17]
	v_and_b32_e32 v18, 63, v50
	v_lshl_add_u32 v18, v18, 4, 0
	v_add_u32_e32 v18, 0x8000, v18
	ds_read2_b64 v[51:54], v18 offset1:1
	v_lshrrev_b32_e32 v18, 2, v50
	v_and_b32_e32 v18, 0x3f0, v18
	v_add_u32_e32 v18, s4, v18
	ds_read_b128 v[55:58], v18 offset:1024
	v_lshrrev_b32_e32 v50, 8, v50
	v_and_b32_e32 v50, 0x3f0, v50
	v_add_u32_e32 v50, s4, v50
	s_waitcnt lgkmcnt(0)
	v_mul_f64 v[18:19], v[53:54], v[57:58]
	v_fma_f64 v[18:19], v[51:52], v[55:56], -v[18:19]
	v_mul_f64 v[51:52], v[51:52], v[57:58]
	v_fma_f64 v[54:55], v[53:54], v[55:56], v[51:52]
	;; [unrolled: 26-line block ×4, first 2 shown]
	ds_read_b128 v[48:51], v48 offset:2048
	s_waitcnt lgkmcnt(0)
	v_mul_f64 v[54:55], v[52:53], v[50:51]
	v_fma_f64 v[54:55], v[48:49], v[38:39], -v[54:55]
	v_mul_f64 v[38:39], v[38:39], v[50:51]
	v_fma_f64 v[38:39], v[48:49], v[52:53], v[38:39]
	v_mul_f64 v[48:49], v[34:35], v[38:39]
	v_fma_f64 v[48:49], v[32:33], v[54:55], -v[48:49]
	v_mul_f64 v[32:33], v[32:33], v[38:39]
	v_fma_f64 v[50:51], v[34:35], v[54:55], v[32:33]
	v_lshrrev_b32_e32 v32, 2, v47
	v_and_b32_e32 v32, 0x3f0, v32
	v_add_u32_e32 v32, s4, v32
	ds_read_b128 v[32:35], v32 offset:1024
	s_waitcnt lgkmcnt(0)
	v_mul_f64 v[38:39], v[36:37], v[34:35]
	v_fma_f64 v[38:39], v[0:1], v[32:33], -v[38:39]
	v_mul_f64 v[0:1], v[0:1], v[34:35]
	v_fma_f64 v[0:1], v[36:37], v[32:33], v[0:1]
	v_lshrrev_b32_e32 v32, 8, v47
	v_and_b32_e32 v32, 0x3f0, v32
	v_add_u32_e32 v32, s4, v32
	ds_read_b128 v[32:35], v32 offset:2048
	s_waitcnt lgkmcnt(0)
	s_barrier
	v_mul_f64 v[36:37], v[0:1], v[34:35]
	v_mul_f64 v[34:35], v[38:39], v[34:35]
	v_fma_f64 v[36:37], v[32:33], v[38:39], -v[36:37]
	v_fma_f64 v[0:1], v[32:33], v[0:1], v[34:35]
	v_mul_f64 v[32:33], v[28:29], v[0:1]
	v_mul_f64 v[0:1], v[30:31], v[0:1]
	v_fma_f64 v[32:33], v[30:31], v[36:37], -v[32:33]
	v_fma_f64 v[34:35], v[28:29], v[36:37], v[0:1]
	ds_write_b128 v46, v[2:5]
	ds_write_b128 v46, v[6:9] offset:1024
	ds_write_b128 v46, v[10:13] offset:2048
	;; [unrolled: 1-line block ×7, first 2 shown]
	s_waitcnt lgkmcnt(0)
	s_barrier
	s_and_saveexec_b64 s[4:5], s[0:1]
	s_cbranch_execz .LBB0_17
; %bb.16:
	v_mad_u64_u32 v[0:1], s[0:1], s18, v45, 0
	v_mad_u64_u32 v[2:3], s[0:1], s16, v40, 0
	;; [unrolled: 1-line block ×4, first 2 shown]
	v_mov_b32_e32 v1, v3
	v_mad_u64_u32 v[5:6], s[0:1], s17, v40, v[1:2]
	v_mov_b32_e32 v1, v4
	v_add_co_u32_e32 v6, vcc, s2, v26
	v_mov_b32_e32 v3, v5
	v_mov_b32_e32 v5, s3
	v_lshlrev_b64 v[0:1], 4, v[0:1]
	v_addc_co_u32_e32 v5, vcc, v5, v27, vcc
	v_add_co_u32_e32 v15, vcc, v6, v0
	v_addc_co_u32_e32 v16, vcc, v5, v1, vcc
	v_lshlrev_b64 v[0:1], 4, v[2:3]
	v_or_b32_e32 v4, v43, v40
	v_add_co_u32_e32 v10, vcc, v15, v0
	v_mov_b32_e32 v0, v9
	v_lshl_add_u32 v4, v4, 4, 0
	v_mad_u64_u32 v[12:13], s[0:1], s17, v44, v[0:1]
	v_add_u32_e32 v0, v43, v40
	v_add_u32_e32 v18, 0x80, v40
	v_addc_co_u32_e32 v11, vcc, v16, v1, vcc
	v_lshl_add_u32 v17, v0, 4, 0
	ds_read_b128 v[0:3], v4
	ds_read_b128 v[4:7], v17 offset:1024
	v_mad_u64_u32 v[13:14], s[0:1], s16, v18, 0
	v_mov_b32_e32 v9, v12
	s_waitcnt lgkmcnt(1)
	global_store_dwordx4 v[10:11], v[0:3], off
	s_nop 0
	v_mov_b32_e32 v2, v14
	v_mad_u64_u32 v[2:3], s[0:1], s17, v18, v[2:3]
	v_lshlrev_b64 v[0:1], 4, v[8:9]
	v_or_b32_e32 v18, 0x100, v40
	v_mov_b32_e32 v14, v2
	v_add_u32_e32 v2, 0xc0, v40
	v_add_co_u32_e32 v0, vcc, v15, v0
	v_mad_u64_u32 v[8:9], s[0:1], s16, v2, 0
	v_addc_co_u32_e32 v1, vcc, v16, v1, vcc
	s_waitcnt lgkmcnt(0)
	global_store_dwordx4 v[0:1], v[4:7], off
	v_lshlrev_b64 v[0:1], 4, v[13:14]
	v_add_co_u32_e32 v10, vcc, v15, v0
	v_mov_b32_e32 v0, v9
	v_mad_u64_u32 v[12:13], s[0:1], s17, v2, v[0:1]
	v_addc_co_u32_e32 v11, vcc, v16, v1, vcc
	ds_read_b128 v[0:3], v17 offset:2048
	ds_read_b128 v[4:7], v17 offset:3072
	v_mad_u64_u32 v[13:14], s[0:1], s16, v18, 0
	v_mov_b32_e32 v9, v12
	s_waitcnt lgkmcnt(1)
	global_store_dwordx4 v[10:11], v[0:3], off
	s_nop 0
	v_lshlrev_b64 v[0:1], 4, v[8:9]
	v_mov_b32_e32 v2, v14
	v_mad_u64_u32 v[2:3], s[0:1], s17, v18, v[2:3]
	v_add_co_u32_e32 v0, vcc, v15, v0
	v_addc_co_u32_e32 v1, vcc, v16, v1, vcc
	s_waitcnt lgkmcnt(0)
	global_store_dwordx4 v[0:1], v[4:7], off
	v_mov_b32_e32 v14, v2
	v_add_u32_e32 v5, 0x140, v40
	v_mad_u64_u32 v[8:9], s[0:1], s16, v5, 0
	v_lshlrev_b64 v[0:1], 4, v[13:14]
	v_add_co_u32_e32 v10, vcc, v15, v0
	v_addc_co_u32_e32 v11, vcc, v16, v1, vcc
	v_mov_b32_e32 v4, v9
	ds_read_b128 v[0:3], v17 offset:4096
	v_mad_u64_u32 v[12:13], s[0:1], s17, v5, v[4:5]
	v_add3_u32 v13, 0, v41, v42
	ds_read_b128 v[4:7], v13 offset:5120
	s_waitcnt lgkmcnt(1)
	global_store_dwordx4 v[10:11], v[0:3], off
	v_mov_b32_e32 v9, v12
	v_add_u32_e32 v2, 0x180, v40
	v_lshlrev_b64 v[0:1], 4, v[8:9]
	v_mad_u64_u32 v[8:9], s[0:1], s16, v2, 0
	v_add_co_u32_e32 v0, vcc, v15, v0
	v_addc_co_u32_e32 v1, vcc, v16, v1, vcc
	s_waitcnt lgkmcnt(0)
	global_store_dwordx4 v[0:1], v[4:7], off
	v_mov_b32_e32 v0, v9
	v_add_u32_e32 v7, 0x1c0, v40
	v_mad_u64_u32 v[0:1], s[0:1], s17, v2, v[0:1]
	v_mad_u64_u32 v[10:11], s[0:1], s16, v7, 0
	v_mov_b32_e32 v9, v0
	ds_read_b128 v[0:3], v13 offset:6144
	v_mov_b32_e32 v6, v11
	v_lshlrev_b64 v[4:5], 4, v[8:9]
	v_mad_u64_u32 v[8:9], s[0:1], s17, v7, v[6:7]
	v_add_co_u32_e32 v11, vcc, v15, v4
	v_addc_co_u32_e32 v12, vcc, v16, v5, vcc
	ds_read_b128 v[4:7], v13 offset:7168
	s_waitcnt lgkmcnt(1)
	global_store_dwordx4 v[11:12], v[0:3], off
	v_mov_b32_e32 v11, v8
	v_lshlrev_b64 v[0:1], 4, v[10:11]
	v_add_co_u32_e32 v0, vcc, v15, v0
	v_addc_co_u32_e32 v1, vcc, v16, v1, vcc
	s_waitcnt lgkmcnt(0)
	global_store_dwordx4 v[0:1], v[4:7], off
.LBB0_17:
	s_endpgm
	.section	.rodata,"a",@progbits
	.p2align	6, 0x0
	.amdhsa_kernel fft_rtc_fwd_len512_factors_8_8_8_wgs_256_tpt_64_dp_ip_CI_sbcc_twdbase6_3step
		.amdhsa_group_segment_fixed_size 0
		.amdhsa_private_segment_fixed_size 0
		.amdhsa_kernarg_size 96
		.amdhsa_user_sgpr_count 6
		.amdhsa_user_sgpr_private_segment_buffer 1
		.amdhsa_user_sgpr_dispatch_ptr 0
		.amdhsa_user_sgpr_queue_ptr 0
		.amdhsa_user_sgpr_kernarg_segment_ptr 1
		.amdhsa_user_sgpr_dispatch_id 0
		.amdhsa_user_sgpr_flat_scratch_init 0
		.amdhsa_user_sgpr_private_segment_size 0
		.amdhsa_uses_dynamic_stack 0
		.amdhsa_system_sgpr_private_segment_wavefront_offset 0
		.amdhsa_system_sgpr_workgroup_id_x 1
		.amdhsa_system_sgpr_workgroup_id_y 0
		.amdhsa_system_sgpr_workgroup_id_z 0
		.amdhsa_system_sgpr_workgroup_info 0
		.amdhsa_system_vgpr_workitem_id 0
		.amdhsa_next_free_vgpr 71
		.amdhsa_next_free_sgpr 41
		.amdhsa_reserve_vcc 1
		.amdhsa_reserve_flat_scratch 0
		.amdhsa_float_round_mode_32 0
		.amdhsa_float_round_mode_16_64 0
		.amdhsa_float_denorm_mode_32 3
		.amdhsa_float_denorm_mode_16_64 3
		.amdhsa_dx10_clamp 1
		.amdhsa_ieee_mode 1
		.amdhsa_fp16_overflow 0
		.amdhsa_exception_fp_ieee_invalid_op 0
		.amdhsa_exception_fp_denorm_src 0
		.amdhsa_exception_fp_ieee_div_zero 0
		.amdhsa_exception_fp_ieee_overflow 0
		.amdhsa_exception_fp_ieee_underflow 0
		.amdhsa_exception_fp_ieee_inexact 0
		.amdhsa_exception_int_div_zero 0
	.end_amdhsa_kernel
	.text
.Lfunc_end0:
	.size	fft_rtc_fwd_len512_factors_8_8_8_wgs_256_tpt_64_dp_ip_CI_sbcc_twdbase6_3step, .Lfunc_end0-fft_rtc_fwd_len512_factors_8_8_8_wgs_256_tpt_64_dp_ip_CI_sbcc_twdbase6_3step
                                        ; -- End function
	.section	.AMDGPU.csdata,"",@progbits
; Kernel info:
; codeLenInByte = 6492
; NumSgprs: 45
; NumVgprs: 71
; ScratchSize: 0
; MemoryBound: 0
; FloatMode: 240
; IeeeMode: 1
; LDSByteSize: 0 bytes/workgroup (compile time only)
; SGPRBlocks: 5
; VGPRBlocks: 17
; NumSGPRsForWavesPerEU: 45
; NumVGPRsForWavesPerEU: 71
; Occupancy: 3
; WaveLimiterHint : 1
; COMPUTE_PGM_RSRC2:SCRATCH_EN: 0
; COMPUTE_PGM_RSRC2:USER_SGPR: 6
; COMPUTE_PGM_RSRC2:TRAP_HANDLER: 0
; COMPUTE_PGM_RSRC2:TGID_X_EN: 1
; COMPUTE_PGM_RSRC2:TGID_Y_EN: 0
; COMPUTE_PGM_RSRC2:TGID_Z_EN: 0
; COMPUTE_PGM_RSRC2:TIDIG_COMP_CNT: 0
	.type	__hip_cuid_c5e193b4c281edbb,@object ; @__hip_cuid_c5e193b4c281edbb
	.section	.bss,"aw",@nobits
	.globl	__hip_cuid_c5e193b4c281edbb
__hip_cuid_c5e193b4c281edbb:
	.byte	0                               ; 0x0
	.size	__hip_cuid_c5e193b4c281edbb, 1

	.ident	"AMD clang version 19.0.0git (https://github.com/RadeonOpenCompute/llvm-project roc-6.4.0 25133 c7fe45cf4b819c5991fe208aaa96edf142730f1d)"
	.section	".note.GNU-stack","",@progbits
	.addrsig
	.addrsig_sym __hip_cuid_c5e193b4c281edbb
	.amdgpu_metadata
---
amdhsa.kernels:
  - .args:
      - .actual_access:  read_only
        .address_space:  global
        .offset:         0
        .size:           8
        .value_kind:     global_buffer
      - .address_space:  global
        .offset:         8
        .size:           8
        .value_kind:     global_buffer
      - .offset:         16
        .size:           8
        .value_kind:     by_value
      - .actual_access:  read_only
        .address_space:  global
        .offset:         24
        .size:           8
        .value_kind:     global_buffer
      - .actual_access:  read_only
        .address_space:  global
        .offset:         32
        .size:           8
        .value_kind:     global_buffer
      - .offset:         40
        .size:           8
        .value_kind:     by_value
      - .actual_access:  read_only
        .address_space:  global
        .offset:         48
        .size:           8
        .value_kind:     global_buffer
      - .actual_access:  read_only
        .address_space:  global
        .offset:         56
        .size:           8
        .value_kind:     global_buffer
      - .offset:         64
        .size:           4
        .value_kind:     by_value
      - .actual_access:  read_only
        .address_space:  global
        .offset:         72
        .size:           8
        .value_kind:     global_buffer
      - .actual_access:  read_only
        .address_space:  global
        .offset:         80
        .size:           8
        .value_kind:     global_buffer
      - .address_space:  global
        .offset:         88
        .size:           8
        .value_kind:     global_buffer
    .group_segment_fixed_size: 0
    .kernarg_segment_align: 8
    .kernarg_segment_size: 96
    .language:       OpenCL C
    .language_version:
      - 2
      - 0
    .max_flat_workgroup_size: 256
    .name:           fft_rtc_fwd_len512_factors_8_8_8_wgs_256_tpt_64_dp_ip_CI_sbcc_twdbase6_3step
    .private_segment_fixed_size: 0
    .sgpr_count:     45
    .sgpr_spill_count: 0
    .symbol:         fft_rtc_fwd_len512_factors_8_8_8_wgs_256_tpt_64_dp_ip_CI_sbcc_twdbase6_3step.kd
    .uniform_work_group_size: 1
    .uses_dynamic_stack: false
    .vgpr_count:     71
    .vgpr_spill_count: 0
    .wavefront_size: 64
amdhsa.target:   amdgcn-amd-amdhsa--gfx906
amdhsa.version:
  - 1
  - 2
...

	.end_amdgpu_metadata
